;; amdgpu-corpus repo=ROCm/hip-tests kind=compiled arch=gfx906 opt=O3
	.amdgcn_target "amdgcn-amd-amdhsa--gfx906"
	.amdhsa_code_object_version 6
	.section	.text._ZL11read_kernelP8d_uint16mPj,"axG",@progbits,_ZL11read_kernelP8d_uint16mPj,comdat
	.globl	_ZL11read_kernelP8d_uint16mPj   ; -- Begin function _ZL11read_kernelP8d_uint16mPj
	.p2align	8
	.type	_ZL11read_kernelP8d_uint16mPj,@function
_ZL11read_kernelP8d_uint16mPj:          ; @_ZL11read_kernelP8d_uint16mPj
; %bb.0:
	s_load_dword s7, s[4:5], 0x24
	s_load_dwordx4 s[0:3], s[4:5], 0x0
	s_load_dwordx2 s[8:9], s[4:5], 0x10
	s_add_u32 s10, s4, 24
	s_addc_u32 s11, s5, 0
	s_waitcnt lgkmcnt(0)
	s_and_b32 s12, s7, 0xffff
	s_mul_i32 s6, s6, s12
	v_add_u32_e32 v0, s6, v0
	v_mov_b32_e32 v1, 0
	v_cmp_gt_u64_e32 vcc, s[2:3], v[0:1]
	s_and_saveexec_b64 s[4:5], vcc
	s_cbranch_execz .LBB0_4
; %bb.1:
	s_load_dword s6, s[10:11], 0x0
	v_lshlrev_b64 v[2:3], 6, v[0:1]
	v_mov_b32_e32 v4, s1
	v_add_co_u32_e32 v2, vcc, s0, v2
	s_mov_b32 s7, 0
	s_waitcnt lgkmcnt(0)
	s_mul_i32 s6, s6, s12
	v_addc_co_u32_e32 v3, vcc, v4, v3, vcc
	v_add_co_u32_e32 v2, vcc, 60, v2
	s_lshl_b64 s[0:1], s[6:7], 6
	v_mov_b32_e32 v5, v1
	v_addc_co_u32_e32 v3, vcc, 0, v3, vcc
	s_mov_b64 s[10:11], 0
	v_mov_b32_e32 v6, s1
	v_mov_b32_e32 v4, v0
	;; [unrolled: 1-line block ×3, first 2 shown]
.LBB0_2:                                ; =>This Inner Loop Header: Depth=1
	global_load_dwordx4 v[7:10], v[2:3], off offset:-60
	global_load_dwordx4 v[11:14], v[2:3], off offset:-44
	;; [unrolled: 1-line block ×3, first 2 shown]
	v_add_co_u32_e32 v4, vcc, s6, v4
	v_addc_co_u32_e32 v5, vcc, 0, v5, vcc
	s_waitcnt vmcnt(2)
	v_add3_u32 v0, v7, v1, v8
	v_add3_u32 v0, v9, v0, v10
	global_load_dwordx4 v[7:10], v[2:3], off offset:-12
	s_waitcnt vmcnt(2)
	v_add3_u32 v0, v11, v0, v12
	v_add_co_u32_e32 v2, vcc, s0, v2
	v_add3_u32 v0, v13, v0, v14
	v_addc_co_u32_e32 v3, vcc, v3, v6, vcc
	s_waitcnt vmcnt(1)
	v_add3_u32 v0, v15, v0, v16
	v_cmp_le_u64_e32 vcc, s[2:3], v[4:5]
	v_add3_u32 v0, v17, v0, v18
	s_or_b64 s[10:11], vcc, s[10:11]
	s_waitcnt vmcnt(0)
	v_add3_u32 v0, v7, v0, v8
	v_add3_u32 v1, v9, v0, v10
	s_andn2_b64 exec, exec, s[10:11]
	s_cbranch_execnz .LBB0_2
; %bb.3:
	s_or_b64 exec, exec, s[10:11]
.LBB0_4:
	s_or_b64 exec, exec, s[4:5]
	s_mov_b64 s[0:1], exec
	s_mov_b32 s2, 0
.LBB0_5:                                ; =>This Inner Loop Header: Depth=1
	s_ff1_i32_b64 s3, s[0:1]
	v_readlane_b32 s6, v1, s3
	s_lshl_b64 s[4:5], 1, s3
	s_add_i32 s2, s2, s6
	s_andn2_b64 s[0:1], s[0:1], s[4:5]
	s_cmp_lg_u64 s[0:1], 0
	s_cbranch_scc1 .LBB0_5
; %bb.6:
	v_mbcnt_lo_u32_b32 v0, exec_lo, 0
	v_mbcnt_hi_u32_b32 v0, exec_hi, v0
	v_cmp_eq_u32_e32 vcc, 0, v0
	s_and_saveexec_b64 s[0:1], vcc
	s_xor_b64 s[0:1], exec, s[0:1]
	s_cbranch_execz .LBB0_8
; %bb.7:
	v_mov_b32_e32 v0, 0
	v_mov_b32_e32 v1, s2
	global_atomic_add v0, v1, s[8:9]
.LBB0_8:
	s_endpgm
	.section	.rodata,"a",@progbits
	.p2align	6, 0x0
	.amdhsa_kernel _ZL11read_kernelP8d_uint16mPj
		.amdhsa_group_segment_fixed_size 0
		.amdhsa_private_segment_fixed_size 0
		.amdhsa_kernarg_size 280
		.amdhsa_user_sgpr_count 6
		.amdhsa_user_sgpr_private_segment_buffer 1
		.amdhsa_user_sgpr_dispatch_ptr 0
		.amdhsa_user_sgpr_queue_ptr 0
		.amdhsa_user_sgpr_kernarg_segment_ptr 1
		.amdhsa_user_sgpr_dispatch_id 0
		.amdhsa_user_sgpr_flat_scratch_init 0
		.amdhsa_user_sgpr_private_segment_size 0
		.amdhsa_uses_dynamic_stack 0
		.amdhsa_system_sgpr_private_segment_wavefront_offset 0
		.amdhsa_system_sgpr_workgroup_id_x 1
		.amdhsa_system_sgpr_workgroup_id_y 0
		.amdhsa_system_sgpr_workgroup_id_z 0
		.amdhsa_system_sgpr_workgroup_info 0
		.amdhsa_system_vgpr_workitem_id 0
		.amdhsa_next_free_vgpr 19
		.amdhsa_next_free_sgpr 13
		.amdhsa_reserve_vcc 1
		.amdhsa_reserve_flat_scratch 0
		.amdhsa_float_round_mode_32 0
		.amdhsa_float_round_mode_16_64 0
		.amdhsa_float_denorm_mode_32 3
		.amdhsa_float_denorm_mode_16_64 3
		.amdhsa_dx10_clamp 1
		.amdhsa_ieee_mode 1
		.amdhsa_fp16_overflow 0
		.amdhsa_exception_fp_ieee_invalid_op 0
		.amdhsa_exception_fp_denorm_src 0
		.amdhsa_exception_fp_ieee_div_zero 0
		.amdhsa_exception_fp_ieee_overflow 0
		.amdhsa_exception_fp_ieee_underflow 0
		.amdhsa_exception_fp_ieee_inexact 0
		.amdhsa_exception_int_div_zero 0
	.end_amdhsa_kernel
	.section	.text._ZL11read_kernelP8d_uint16mPj,"axG",@progbits,_ZL11read_kernelP8d_uint16mPj,comdat
.Lfunc_end0:
	.size	_ZL11read_kernelP8d_uint16mPj, .Lfunc_end0-_ZL11read_kernelP8d_uint16mPj
                                        ; -- End function
	.set _ZL11read_kernelP8d_uint16mPj.num_vgpr, 19
	.set _ZL11read_kernelP8d_uint16mPj.num_agpr, 0
	.set _ZL11read_kernelP8d_uint16mPj.numbered_sgpr, 13
	.set _ZL11read_kernelP8d_uint16mPj.num_named_barrier, 0
	.set _ZL11read_kernelP8d_uint16mPj.private_seg_size, 0
	.set _ZL11read_kernelP8d_uint16mPj.uses_vcc, 1
	.set _ZL11read_kernelP8d_uint16mPj.uses_flat_scratch, 0
	.set _ZL11read_kernelP8d_uint16mPj.has_dyn_sized_stack, 0
	.set _ZL11read_kernelP8d_uint16mPj.has_recursion, 0
	.set _ZL11read_kernelP8d_uint16mPj.has_indirect_call, 0
	.section	.AMDGPU.csdata,"",@progbits
; Kernel info:
; codeLenInByte = 384
; TotalNumSgprs: 17
; NumVgprs: 19
; ScratchSize: 0
; MemoryBound: 0
; FloatMode: 240
; IeeeMode: 1
; LDSByteSize: 0 bytes/workgroup (compile time only)
; SGPRBlocks: 2
; VGPRBlocks: 4
; NumSGPRsForWavesPerEU: 17
; NumVGPRsForWavesPerEU: 19
; Occupancy: 10
; WaveLimiterHint : 0
; COMPUTE_PGM_RSRC2:SCRATCH_EN: 0
; COMPUTE_PGM_RSRC2:USER_SGPR: 6
; COMPUTE_PGM_RSRC2:TRAP_HANDLER: 0
; COMPUTE_PGM_RSRC2:TGID_X_EN: 1
; COMPUTE_PGM_RSRC2:TGID_Y_EN: 0
; COMPUTE_PGM_RSRC2:TGID_Z_EN: 0
; COMPUTE_PGM_RSRC2:TIDIG_COMP_CNT: 0
	.section	.AMDGPU.gpr_maximums,"",@progbits
	.set amdgpu.max_num_vgpr, 0
	.set amdgpu.max_num_agpr, 0
	.set amdgpu.max_num_sgpr, 0
	.section	.AMDGPU.csdata,"",@progbits
	.type	__hip_cuid_7bdcefe21ef8c773,@object ; @__hip_cuid_7bdcefe21ef8c773
	.section	.bss,"aw",@nobits
	.globl	__hip_cuid_7bdcefe21ef8c773
__hip_cuid_7bdcefe21ef8c773:
	.byte	0                               ; 0x0
	.size	__hip_cuid_7bdcefe21ef8c773, 1

	.ident	"AMD clang version 22.0.0git (https://github.com/RadeonOpenCompute/llvm-project roc-7.2.4 26084 f58b06dce1f9c15707c5f808fd002e18c2accf7e)"
	.section	".note.GNU-stack","",@progbits
	.addrsig
	.addrsig_sym __hip_cuid_7bdcefe21ef8c773
	.amdgpu_metadata
---
amdhsa.kernels:
  - .args:
      - .address_space:  global
        .offset:         0
        .size:           8
        .value_kind:     global_buffer
      - .offset:         8
        .size:           8
        .value_kind:     by_value
      - .address_space:  global
        .offset:         16
        .size:           8
        .value_kind:     global_buffer
      - .offset:         24
        .size:           4
        .value_kind:     hidden_block_count_x
      - .offset:         28
        .size:           4
        .value_kind:     hidden_block_count_y
      - .offset:         32
        .size:           4
        .value_kind:     hidden_block_count_z
      - .offset:         36
        .size:           2
        .value_kind:     hidden_group_size_x
      - .offset:         38
        .size:           2
        .value_kind:     hidden_group_size_y
      - .offset:         40
        .size:           2
        .value_kind:     hidden_group_size_z
      - .offset:         42
        .size:           2
        .value_kind:     hidden_remainder_x
      - .offset:         44
        .size:           2
        .value_kind:     hidden_remainder_y
      - .offset:         46
        .size:           2
        .value_kind:     hidden_remainder_z
      - .offset:         64
        .size:           8
        .value_kind:     hidden_global_offset_x
      - .offset:         72
        .size:           8
        .value_kind:     hidden_global_offset_y
      - .offset:         80
        .size:           8
        .value_kind:     hidden_global_offset_z
      - .offset:         88
        .size:           2
        .value_kind:     hidden_grid_dims
    .group_segment_fixed_size: 0
    .kernarg_segment_align: 8
    .kernarg_segment_size: 280
    .language:       OpenCL C
    .language_version:
      - 2
      - 0
    .max_flat_workgroup_size: 1024
    .name:           _ZL11read_kernelP8d_uint16mPj
    .private_segment_fixed_size: 0
    .sgpr_count:     17
    .sgpr_spill_count: 0
    .symbol:         _ZL11read_kernelP8d_uint16mPj.kd
    .uniform_work_group_size: 1
    .uses_dynamic_stack: false
    .vgpr_count:     19
    .vgpr_spill_count: 0
    .wavefront_size: 64
amdhsa.target:   amdgcn-amd-amdhsa--gfx906
amdhsa.version:
  - 1
  - 2
...

	.end_amdgpu_metadata
